;; amdgpu-corpus repo=ROCm/rocFFT kind=compiled arch=gfx950 opt=O3
	.text
	.amdgcn_target "amdgcn-amd-amdhsa--gfx950"
	.amdhsa_code_object_version 6
	.protected	bluestein_single_fwd_len70_dim1_dp_op_CI_CI ; -- Begin function bluestein_single_fwd_len70_dim1_dp_op_CI_CI
	.globl	bluestein_single_fwd_len70_dim1_dp_op_CI_CI
	.p2align	8
	.type	bluestein_single_fwd_len70_dim1_dp_op_CI_CI,@function
bluestein_single_fwd_len70_dim1_dp_op_CI_CI: ; @bluestein_single_fwd_len70_dim1_dp_op_CI_CI
; %bb.0:
	s_load_dwordx4 s[12:15], s[0:1], 0x28
	v_mul_u32_u24_e32 v1, 0x124a, v0
	v_lshrrev_b32_e32 v2, 16, v1
	v_mad_u64_u32 v[88:89], s[2:3], s2, 18, v[2:3]
	v_mov_b32_e32 v85, 0
	v_mov_b32_e32 v89, v85
	s_waitcnt lgkmcnt(0)
	v_cmp_gt_u64_e32 vcc, s[12:13], v[88:89]
	s_and_saveexec_b64 s[2:3], vcc
	s_cbranch_execz .LBB0_23
; %bb.1:
	s_load_dwordx4 s[4:7], s[0:1], 0x18
	s_load_dwordx2 s[12:13], s[0:1], 0x0
	v_mul_lo_u16_e32 v1, 14, v2
	v_sub_u16_e32 v84, v0, v1
	v_mov_b32_e32 v4, s14
	s_waitcnt lgkmcnt(0)
	s_load_dwordx4 s[8:11], s[4:5], 0x0
	v_mov_b32_e32 v5, s15
	v_lshlrev_b32_e32 v34, 4, v84
	v_mov_b32_e32 v35, v85
	v_lshl_add_u64 v[86:87], s[12:13], 0, v[34:35]
	s_waitcnt lgkmcnt(0)
	v_mad_u64_u32 v[0:1], s[2:3], s10, v88, 0
	v_mov_b32_e32 v2, v1
	v_mad_u64_u32 v[2:3], s[2:3], s11, v88, v[2:3]
	v_mov_b32_e32 v1, v2
	;; [unrolled: 2-line block ×3, first 2 shown]
	v_mad_u64_u32 v[6:7], s[2:3], s9, v84, v[6:7]
	s_mul_i32 s2, s9, 35
	s_mul_hi_u32 s3, s8, 35
	v_mov_b32_e32 v3, v6
	v_lshl_add_u64 v[0:1], v[0:1], 4, v[4:5]
	s_add_i32 s11, s3, s2
	s_mul_i32 s10, s8, 35
	s_mul_hi_u32 s5, s8, 0xffffffeb
	v_lshl_add_u64 v[4:5], v[2:3], 4, v[0:1]
	s_lshl_b64 s[2:3], s[10:11], 4
	s_mul_i32 s4, s9, 0xffffffeb
	s_sub_i32 s5, s5, s8
	v_lshl_add_u64 v[6:7], v[4:5], 0, s[2:3]
	global_load_dwordx4 v[18:21], v[4:5], off
	global_load_dwordx4 v[22:25], v[6:7], off
	global_load_dwordx4 v[12:15], v34, s[12:13]
	global_load_dwordx4 v[0:3], v34, s[12:13] offset:560
	s_add_i32 s9, s5, s4
	s_mulk_i32 s8, 0xffeb
	v_lshl_add_u64 v[8:9], s[8:9], 4, v[6:7]
	global_load_dwordx4 v[26:29], v[8:9], off
	global_load_dwordx4 v[4:7], v34, s[12:13] offset:224
	v_lshl_add_u64 v[16:17], v[8:9], 0, s[2:3]
	global_load_dwordx4 v[8:11], v34, s[12:13] offset:784
	global_load_dwordx4 v[30:33], v[16:17], off
	s_mov_b32 s4, 0x38e38e39
	v_mul_hi_u32 v36, v88, s4
	v_lshrrev_b32_e32 v36, 2, v36
	v_mul_lo_u32 v36, v36, 18
	v_sub_u32_e32 v36, v88, v36
	v_mul_u32_u24_e32 v36, 0x46, v36
	v_lshlrev_b32_e32 v102, 4, v36
	s_load_dwordx2 s[2:3], s[0:1], 0x38
	v_add_u32_e32 v89, v34, v102
	s_load_dwordx4 s[4:7], s[6:7], 0x0
	v_cmp_gt_u16_e32 vcc, 7, v84
	s_waitcnt vmcnt(5)
	v_mul_f64 v[34:35], v[20:21], v[14:15]
	v_mul_f64 v[36:37], v[18:19], v[14:15]
	v_fmac_f64_e32 v[34:35], v[18:19], v[12:13]
	v_fma_f64 v[36:37], v[20:21], v[12:13], -v[36:37]
	s_waitcnt vmcnt(4)
	v_mul_f64 v[18:19], v[24:25], v[2:3]
	v_mul_f64 v[20:21], v[22:23], v[2:3]
	v_fmac_f64_e32 v[18:19], v[22:23], v[0:1]
	v_fma_f64 v[20:21], v[24:25], v[0:1], -v[20:21]
	s_waitcnt vmcnt(2)
	v_mul_f64 v[22:23], v[28:29], v[6:7]
	v_mul_f64 v[24:25], v[26:27], v[6:7]
	ds_write_b128 v89, v[18:21] offset:560
	s_waitcnt vmcnt(0)
	v_mul_f64 v[18:19], v[32:33], v[10:11]
	v_mul_f64 v[20:21], v[30:31], v[10:11]
	v_fmac_f64_e32 v[22:23], v[26:27], v[4:5]
	v_fma_f64 v[24:25], v[28:29], v[4:5], -v[24:25]
	v_fmac_f64_e32 v[18:19], v[30:31], v[8:9]
	v_fma_f64 v[20:21], v[32:33], v[8:9], -v[20:21]
	ds_write_b128 v89, v[34:37]
	ds_write_b128 v89, v[22:25] offset:224
	ds_write_b128 v89, v[18:21] offset:784
	s_and_saveexec_b64 s[14:15], vcc
	s_cbranch_execz .LBB0_3
; %bb.2:
	v_lshl_add_u64 v[28:29], s[8:9], 4, v[16:17]
	global_load_dwordx4 v[16:19], v[28:29], off
	global_load_dwordx4 v[20:23], v[86:87], off offset:448
	global_load_dwordx4 v[24:27], v[86:87], off offset:1008
	v_lshl_add_u64 v[28:29], s[10:11], 4, v[28:29]
	global_load_dwordx4 v[28:31], v[28:29], off
	s_waitcnt vmcnt(2)
	v_mul_f64 v[32:33], v[18:19], v[22:23]
	v_mul_f64 v[22:23], v[16:17], v[22:23]
	v_fmac_f64_e32 v[32:33], v[16:17], v[20:21]
	v_fma_f64 v[34:35], v[18:19], v[20:21], -v[22:23]
	s_waitcnt vmcnt(0)
	v_mul_f64 v[16:17], v[30:31], v[26:27]
	v_mul_f64 v[18:19], v[28:29], v[26:27]
	v_fmac_f64_e32 v[16:17], v[28:29], v[24:25]
	v_fma_f64 v[18:19], v[30:31], v[24:25], -v[18:19]
	ds_write_b128 v89, v[32:35] offset:448
	ds_write_b128 v89, v[16:19] offset:1008
.LBB0_3:
	s_or_b64 exec, exec, s[14:15]
	s_waitcnt lgkmcnt(0)
	s_barrier
	ds_read_b128 v[28:31], v89
	ds_read_b128 v[20:23], v89 offset:224
	ds_read_b128 v[36:39], v89 offset:560
	;; [unrolled: 1-line block ×3, first 2 shown]
	s_load_dwordx2 s[8:9], s[0:1], 0x8
                                        ; implicit-def: $vgpr16_vgpr17
                                        ; implicit-def: $vgpr32_vgpr33
	s_and_saveexec_b64 s[0:1], vcc
	s_cbranch_execz .LBB0_5
; %bb.4:
	ds_read_b128 v[16:19], v89 offset:448
	ds_read_b128 v[32:35], v89 offset:1008
.LBB0_5:
	s_or_b64 exec, exec, s[0:1]
	v_lshl_add_u64 v[40:41], v[84:85], 0, 28
	s_waitcnt lgkmcnt(0)
	v_add_f64 v[36:37], v[28:29], -v[36:37]
	v_add_f64 v[38:39], v[30:31], -v[38:39]
	;; [unrolled: 1-line block ×5, first 2 shown]
	v_lshlrev_b16_e32 v32, 1, v84
	v_fma_f64 v[28:29], v[28:29], 2.0, -v[36:37]
	v_fma_f64 v[30:31], v[30:31], 2.0, -v[38:39]
	;; [unrolled: 1-line block ×4, first 2 shown]
	v_add_f64 v[58:59], v[18:19], -v[34:35]
	v_lshl_add_u32 v103, v32, 4, v102
	v_lshl_add_u32 v104, v84, 5, v102
	v_lshl_add_u32 v85, v40, 5, v102
	s_barrier
	ds_write_b128 v103, v[28:31]
	ds_write_b128 v103, v[36:39] offset:16
	ds_write_b128 v104, v[20:23] offset:448
	ds_write_b128 v104, v[24:27] offset:464
	s_and_saveexec_b64 s[0:1], vcc
	s_cbranch_execz .LBB0_7
; %bb.6:
	v_fma_f64 v[18:19], v[18:19], 2.0, -v[58:59]
	v_fma_f64 v[16:17], v[16:17], 2.0, -v[56:57]
	ds_write_b128 v85, v[16:19]
	ds_write_b128 v85, v[56:59] offset:16
.LBB0_7:
	s_or_b64 exec, exec, s[0:1]
	v_and_b32_e32 v96, 1, v84
	v_lshlrev_b32_e32 v32, 6, v96
	s_waitcnt lgkmcnt(0)
	s_barrier
	global_load_dwordx4 v[28:31], v32, s[8:9]
	global_load_dwordx4 v[24:27], v32, s[8:9] offset:16
	global_load_dwordx4 v[20:23], v32, s[8:9] offset:32
	;; [unrolled: 1-line block ×3, first 2 shown]
	ds_read_b128 v[60:63], v89
	ds_read_b128 v[32:35], v89 offset:224
	ds_read_b128 v[36:39], v89 offset:448
	;; [unrolled: 1-line block ×4, first 2 shown]
	s_mov_b32 s10, 0x134454ff
	s_mov_b32 s11, 0x3fee6f0e
	;; [unrolled: 1-line block ×10, first 2 shown]
	s_waitcnt lgkmcnt(0)
	s_barrier
	s_waitcnt vmcnt(3)
	v_mul_f64 v[50:51], v[32:33], v[30:31]
	s_waitcnt vmcnt(2)
	v_mul_f64 v[54:55], v[36:37], v[26:27]
	s_waitcnt vmcnt(1)
	v_mul_f64 v[80:81], v[40:41], v[22:23]
	s_waitcnt vmcnt(0)
	v_mul_f64 v[82:83], v[44:45], v[18:19]
	v_mul_f64 v[48:49], v[34:35], v[30:31]
	v_mul_f64 v[52:53], v[38:39], v[26:27]
	;; [unrolled: 1-line block ×4, first 2 shown]
	v_fmac_f64_e32 v[50:51], v[34:35], v[28:29]
	v_fmac_f64_e32 v[54:55], v[38:39], v[24:25]
	;; [unrolled: 1-line block ×4, first 2 shown]
	v_fma_f64 v[32:33], v[32:33], v[28:29], -v[48:49]
	v_fma_f64 v[34:35], v[36:37], v[24:25], -v[52:53]
	v_fma_f64 v[36:37], v[40:41], v[20:21], -v[64:65]
	v_fma_f64 v[38:39], v[44:45], v[16:17], -v[66:67]
	v_add_f64 v[70:71], v[54:55], v[80:81]
	v_add_f64 v[92:93], v[50:51], v[82:83]
	;; [unrolled: 1-line block ×4, first 2 shown]
	v_add_f64 v[46:47], v[32:33], -v[34:35]
	v_add_f64 v[48:49], v[38:39], -v[36:37]
	v_add_f64 v[68:69], v[62:63], v[50:51]
	v_add_f64 v[90:91], v[34:35], -v[36:37]
	v_add_f64 v[72:73], v[50:51], -v[54:55]
	v_add_f64 v[74:75], v[82:83], -v[80:81]
	v_fma_f64 v[78:79], -0.5, v[70:71], v[62:63]
	v_fmac_f64_e32 v[62:63], -0.5, v[92:93]
	v_add_f64 v[52:53], v[32:33], v[38:39]
	v_add_f64 v[64:65], v[34:35], -v[32:33]
	v_add_f64 v[32:33], v[32:33], -v[38:39]
	v_add_f64 v[46:47], v[46:47], v[48:49]
	v_fma_f64 v[76:77], -0.5, v[42:43], v[60:61]
	v_add_f64 v[34:35], v[40:41], v[34:35]
	v_add_f64 v[42:43], v[72:73], v[74:75]
	;; [unrolled: 1-line block ×3, first 2 shown]
	v_fma_f64 v[74:75], s[10:11], v[90:91], v[62:63]
	v_fmac_f64_e32 v[62:63], s[14:15], v[90:91]
	v_add_f64 v[44:45], v[50:51], -v[82:83]
	v_add_f64 v[66:67], v[36:37], -v[38:39]
	;; [unrolled: 1-line block ×3, first 2 shown]
	v_fmac_f64_e32 v[60:61], -0.5, v[52:53]
	v_add_f64 v[34:35], v[34:35], v[36:37]
	v_add_f64 v[36:37], v[48:49], v[80:81]
	v_fma_f64 v[70:71], s[14:15], v[32:33], v[78:79]
	v_fmac_f64_e32 v[78:79], s[10:11], v[32:33]
	v_fmac_f64_e32 v[74:75], s[16:17], v[32:33]
	;; [unrolled: 1-line block ×3, first 2 shown]
	v_lshrrev_b32_e32 v32, 1, v84
	v_add_f64 v[40:41], v[64:65], v[66:67]
	v_fma_f64 v[68:69], s[10:11], v[44:45], v[76:77]
	v_fmac_f64_e32 v[76:77], s[14:15], v[44:45]
	v_fma_f64 v[72:73], s[14:15], v[94:95], v[60:61]
	v_fmac_f64_e32 v[60:61], s[10:11], v[94:95]
	v_add_f64 v[64:65], v[34:35], v[38:39]
	v_add_f64 v[66:67], v[36:37], v[82:83]
	v_add_f64 v[34:35], v[54:55], -v[50:51]
	v_add_f64 v[36:37], v[80:81], -v[82:83]
	v_mul_u32_u24_e32 v32, 10, v32
	v_fmac_f64_e32 v[68:69], s[0:1], v[94:95]
	v_fmac_f64_e32 v[76:77], s[16:17], v[94:95]
	;; [unrolled: 1-line block ×6, first 2 shown]
	v_add_f64 v[34:35], v[34:35], v[36:37]
	v_or_b32_e32 v32, v32, v96
	v_fmac_f64_e32 v[68:69], s[18:19], v[46:47]
	v_fmac_f64_e32 v[76:77], s[18:19], v[46:47]
	;; [unrolled: 1-line block ×8, first 2 shown]
	v_lshl_add_u32 v105, v32, 4, v102
	v_cmp_gt_u16_e64 s[0:1], 10, v84
	ds_write_b128 v105, v[64:67]
	ds_write_b128 v105, v[68:71] offset:32
	ds_write_b128 v105, v[72:75] offset:64
	;; [unrolled: 1-line block ×4, first 2 shown]
	s_waitcnt lgkmcnt(0)
	s_barrier
	s_waitcnt lgkmcnt(0)
                                        ; implicit-def: $vgpr80_vgpr81
	s_and_saveexec_b64 s[10:11], s[0:1]
	s_cbranch_execz .LBB0_9
; %bb.8:
	ds_read_b128 v[64:67], v89
	ds_read_b128 v[68:71], v89 offset:160
	ds_read_b128 v[72:75], v89 offset:320
	ds_read_b128 v[60:63], v89 offset:480
	ds_read_b128 v[76:79], v89 offset:640
	ds_read_b128 v[56:59], v89 offset:800
	ds_read_b128 v[80:83], v89 offset:960
.LBB0_9:
	s_or_b64 exec, exec, s[10:11]
	v_add_u32_e32 v32, -10, v84
	v_cndmask_b32_e64 v32, v32, v84, s[0:1]
	v_mul_hi_i32_i24_e32 v33, 0x60, v32
	v_mul_i32_i24_e32 v32, 0x60, v32
	v_lshl_add_u64 v[90:91], s[8:9], 0, v[32:33]
	global_load_dwordx4 v[44:47], v[90:91], off offset:128
	global_load_dwordx4 v[40:43], v[90:91], off offset:144
	;; [unrolled: 1-line block ×6, first 2 shown]
	s_mov_b32 s14, 0x37e14327
	s_mov_b32 s8, 0x36b3c0b5
	;; [unrolled: 1-line block ×12, first 2 shown]
	s_waitcnt vmcnt(5) lgkmcnt(5)
	v_mul_f64 v[90:91], v[70:71], v[46:47]
	v_mul_f64 v[92:93], v[68:69], v[46:47]
	s_waitcnt vmcnt(4) lgkmcnt(4)
	v_mul_f64 v[94:95], v[74:75], v[42:43]
	v_mul_f64 v[96:97], v[72:73], v[42:43]
	;; [unrolled: 3-line block ×6, first 2 shown]
	v_fma_f64 v[68:69], v[68:69], v[44:45], -v[90:91]
	v_fmac_f64_e32 v[92:93], v[70:71], v[44:45]
	v_fma_f64 v[70:71], v[72:73], v[40:41], -v[94:95]
	v_fmac_f64_e32 v[96:97], v[74:75], v[40:41]
	;; [unrolled: 2-line block ×6, first 2 shown]
	v_add_f64 v[72:73], v[68:69], v[58:59]
	v_add_f64 v[74:75], v[92:93], v[116:117]
	;; [unrolled: 1-line block ×4, first 2 shown]
	v_add_f64 v[56:57], v[70:71], -v[56:57]
	v_add_f64 v[80:81], v[60:61], v[62:63]
	v_add_f64 v[82:83], v[100:101], v[108:109]
	v_add_f64 v[60:61], v[62:63], -v[60:61]
	v_add_f64 v[58:59], v[68:69], -v[58:59]
	v_add_f64 v[68:69], v[92:93], -v[116:117]
	v_add_f64 v[70:71], v[96:97], -v[112:113]
	v_add_f64 v[90:91], v[76:77], v[72:73]
	v_add_f64 v[92:93], v[78:79], v[74:75]
	v_add_f64 v[94:95], v[76:77], -v[72:73]
	v_add_f64 v[96:97], v[78:79], -v[74:75]
	v_add_f64 v[74:75], v[74:75], -v[82:83]
	v_add_f64 v[76:77], v[80:81], -v[76:77]
	v_add_f64 v[78:79], v[82:83], -v[78:79]
	v_add_f64 v[98:99], v[60:61], v[56:57]
	v_add_f64 v[62:63], v[108:109], -v[100:101]
	v_add_f64 v[72:73], v[72:73], -v[80:81]
	;; [unrolled: 1-line block ×5, first 2 shown]
	v_add_f64 v[82:83], v[82:83], v[92:93]
	v_add_f64 v[58:59], v[98:99], v[58:59]
	v_mul_f64 v[98:99], v[74:75], s[14:15]
	v_mul_f64 v[74:75], v[76:77], s[8:9]
	;; [unrolled: 1-line block ×3, first 2 shown]
	v_add_f64 v[100:101], v[62:63], v[70:71]
	v_add_f64 v[108:109], v[62:63], -v[70:71]
	v_add_f64 v[80:81], v[80:81], v[90:91]
	v_mul_f64 v[90:91], v[72:73], s[14:15]
	v_fma_f64 v[116:117], v[94:95], s[20:21], -v[74:75]
	v_fma_f64 v[118:119], v[96:97], s[20:21], -v[92:93]
	s_mov_b32 s21, 0xbfe77f67
	v_add_f64 v[62:63], v[68:69], -v[62:63]
	v_add_f64 v[110:111], v[70:71], -v[68:69]
	v_add_f64 v[112:113], v[100:101], v[68:69]
	v_mul_f64 v[100:101], v[106:107], s[16:17]
	v_mul_f64 v[72:73], v[108:109], s[16:17]
	v_add_f64 v[68:69], v[64:65], v[80:81]
	v_fma_f64 v[64:65], s[8:9], v[76:77], v[90:91]
	v_fma_f64 v[120:121], v[96:97], s[20:21], -v[98:99]
	v_fmac_f64_e32 v[98:99], s[8:9], v[78:79]
	s_mov_b32 s9, 0x3fd5d0dc
	s_mov_b32 s8, 0xb247c609
	v_mul_f64 v[106:107], v[56:57], s[10:11]
	v_mul_f64 v[108:109], v[110:111], s[10:11]
	v_add_f64 v[70:71], v[66:67], v[82:83]
	v_fma_f64 v[66:67], s[18:19], v[80:81], v[68:69]
	v_fma_f64 v[74:75], s[8:9], v[60:61], v[100:101]
	v_fma_f64 v[80:81], v[110:111], s[10:11], -v[72:73]
	v_fmac_f64_e32 v[72:73], s[8:9], v[62:63]
	s_mov_b32 s9, 0xbfd5d0dc
	v_fma_f64 v[114:115], s[18:19], v[82:83], v[70:71]
	v_fma_f64 v[92:93], v[60:61], s[8:9], -v[106:107]
	v_fma_f64 v[82:83], v[62:63], s[8:9], -v[108:109]
	s_mov_b32 s8, 0x37c3f68c
	v_fma_f64 v[94:95], v[94:95], s[20:21], -v[90:91]
	v_fma_f64 v[90:91], v[56:57], s[10:11], -v[100:101]
	s_mov_b32 s9, 0x3fdc38aa
	v_add_f64 v[76:77], v[64:65], v[66:67]
	v_add_f64 v[78:79], v[98:99], v[114:115]
	;; [unrolled: 1-line block ×6, first 2 shown]
	v_fmac_f64_e32 v[74:75], s[8:9], v[58:59]
	v_fmac_f64_e32 v[72:73], s[8:9], v[112:113]
	;; [unrolled: 1-line block ×6, first 2 shown]
	v_add_f64 v[60:61], v[80:81], v[96:97]
	v_add_f64 v[62:63], v[100:101], -v[90:91]
	v_add_f64 v[64:65], v[94:95], -v[82:83]
	v_add_f64 v[66:67], v[92:93], v[98:99]
	v_add_f64 v[56:57], v[76:77], -v[72:73]
	v_add_f64 v[58:59], v[74:75], v[78:79]
	s_and_saveexec_b64 s[8:9], s[0:1]
	s_cbranch_execz .LBB0_11
; %bb.10:
	v_add_f64 v[74:75], v[78:79], -v[74:75]
	v_add_f64 v[72:73], v[72:73], v[76:77]
	ds_write_b128 v89, v[68:71]
	v_lshl_add_u32 v68, v84, 4, v102
	v_add_f64 v[108:109], v[90:91], v[100:101]
	v_add_f64 v[106:107], v[96:97], -v[80:81]
	v_add_f64 v[92:93], v[98:99], -v[92:93]
	v_add_f64 v[90:91], v[82:83], v[94:95]
	ds_write_b128 v68, v[72:75] offset:160
	ds_write_b128 v68, v[90:93] offset:320
	;; [unrolled: 1-line block ×6, first 2 shown]
.LBB0_11:
	s_or_b64 exec, exec, s[8:9]
	s_waitcnt lgkmcnt(0)
	s_barrier
	global_load_dwordx4 v[70:73], v[86:87], off offset:1120
	s_add_u32 s8, s12, 0x460
	s_addc_u32 s9, s13, 0
	v_lshlrev_b32_e32 v68, 4, v84
	global_load_dwordx4 v[74:77], v68, s[8:9] offset:560
	global_load_dwordx4 v[78:81], v68, s[8:9] offset:224
	;; [unrolled: 1-line block ×3, first 2 shown]
	ds_read_b128 v[94:97], v89
	ds_read_b128 v[98:101], v89 offset:224
	ds_read_b128 v[106:109], v89 offset:560
	;; [unrolled: 1-line block ×3, first 2 shown]
	s_waitcnt vmcnt(3) lgkmcnt(3)
	v_mul_f64 v[82:83], v[96:97], v[72:73]
	v_mul_f64 v[116:117], v[94:95], v[72:73]
	v_fma_f64 v[114:115], v[94:95], v[70:71], -v[82:83]
	v_fmac_f64_e32 v[116:117], v[96:97], v[70:71]
	s_waitcnt vmcnt(2) lgkmcnt(1)
	v_mul_f64 v[70:71], v[108:109], v[76:77]
	v_mul_f64 v[72:73], v[106:107], v[76:77]
	s_waitcnt vmcnt(1)
	v_mul_f64 v[82:83], v[100:101], v[80:81]
	v_mul_f64 v[76:77], v[98:99], v[80:81]
	s_waitcnt vmcnt(0) lgkmcnt(0)
	v_mul_f64 v[94:95], v[112:113], v[92:93]
	v_mul_f64 v[80:81], v[110:111], v[92:93]
	v_fma_f64 v[70:71], v[106:107], v[74:75], -v[70:71]
	v_fmac_f64_e32 v[72:73], v[108:109], v[74:75]
	ds_write_b128 v89, v[114:117]
	v_fma_f64 v[74:75], v[98:99], v[78:79], -v[82:83]
	v_fmac_f64_e32 v[76:77], v[100:101], v[78:79]
	v_fma_f64 v[78:79], v[110:111], v[90:91], -v[94:95]
	v_fmac_f64_e32 v[80:81], v[112:113], v[90:91]
	ds_write_b128 v89, v[70:73] offset:560
	ds_write_b128 v89, v[74:77] offset:224
	;; [unrolled: 1-line block ×3, first 2 shown]
	s_and_saveexec_b64 s[10:11], vcc
	s_cbranch_execz .LBB0_13
; %bb.12:
	v_mov_b32_e32 v69, 0
	v_lshl_add_u64 v[76:77], s[8:9], 0, v[68:69]
	global_load_dwordx4 v[68:71], v[76:77], off offset:448
	global_load_dwordx4 v[72:75], v[76:77], off offset:1008
	ds_read_b128 v[76:79], v89 offset:448
	ds_read_b128 v[80:83], v89 offset:1008
	s_waitcnt vmcnt(1) lgkmcnt(1)
	v_mul_f64 v[90:91], v[78:79], v[70:71]
	v_mul_f64 v[92:93], v[76:77], v[70:71]
	s_waitcnt vmcnt(0) lgkmcnt(0)
	v_mul_f64 v[94:95], v[82:83], v[74:75]
	v_mul_f64 v[70:71], v[80:81], v[74:75]
	v_fma_f64 v[90:91], v[76:77], v[68:69], -v[90:91]
	v_fmac_f64_e32 v[92:93], v[78:79], v[68:69]
	v_fma_f64 v[68:69], v[80:81], v[72:73], -v[94:95]
	v_fmac_f64_e32 v[70:71], v[82:83], v[72:73]
	ds_write_b128 v89, v[90:93] offset:448
	ds_write_b128 v89, v[68:71] offset:1008
.LBB0_13:
	s_or_b64 exec, exec, s[10:11]
	s_waitcnt lgkmcnt(0)
	s_barrier
	ds_read_b128 v[76:79], v89
	ds_read_b128 v[68:71], v89 offset:224
	ds_read_b128 v[80:83], v89 offset:560
	;; [unrolled: 1-line block ×3, first 2 shown]
	v_add_u32_e32 v90, 0x1c0, v104
	s_and_saveexec_b64 s[8:9], vcc
	s_cbranch_execz .LBB0_15
; %bb.14:
	v_lshl_add_u32 v64, v84, 4, v102
	ds_read_b128 v[60:63], v64 offset:448
	ds_read_b128 v[64:67], v64 offset:1008
.LBB0_15:
	s_or_b64 exec, exec, s[8:9]
	s_waitcnt lgkmcnt(1)
	v_add_f64 v[80:81], v[76:77], -v[80:81]
	v_add_f64 v[82:83], v[78:79], -v[82:83]
	v_fma_f64 v[76:77], v[76:77], 2.0, -v[80:81]
	v_fma_f64 v[78:79], v[78:79], 2.0, -v[82:83]
	s_waitcnt lgkmcnt(0)
	v_add_f64 v[72:73], v[68:69], -v[72:73]
	v_add_f64 v[74:75], v[70:71], -v[74:75]
	;; [unrolled: 1-line block ×4, first 2 shown]
	v_fma_f64 v[68:69], v[68:69], 2.0, -v[72:73]
	v_fma_f64 v[70:71], v[70:71], 2.0, -v[74:75]
	s_barrier
	ds_write_b128 v103, v[76:79]
	ds_write_b128 v103, v[80:83] offset:16
	ds_write_b128 v90, v[68:71]
	ds_write_b128 v90, v[72:75] offset:16
	s_and_saveexec_b64 s[8:9], vcc
	s_cbranch_execz .LBB0_17
; %bb.16:
	v_fma_f64 v[62:63], v[62:63], 2.0, -v[66:67]
	v_fma_f64 v[60:61], v[60:61], 2.0, -v[64:65]
	ds_write_b128 v85, v[60:63]
	ds_write_b128 v85, v[64:67] offset:16
.LBB0_17:
	s_or_b64 exec, exec, s[8:9]
	s_waitcnt lgkmcnt(0)
	s_barrier
	ds_read_b128 v[68:71], v89 offset:224
	ds_read_b128 v[60:63], v89
	ds_read_b128 v[72:75], v89 offset:448
	ds_read_b128 v[76:79], v89 offset:672
	;; [unrolled: 1-line block ×3, first 2 shown]
	s_waitcnt lgkmcnt(4)
	v_mul_f64 v[90:91], v[30:31], v[70:71]
	v_mul_f64 v[30:31], v[30:31], v[68:69]
	v_fmac_f64_e32 v[90:91], v[28:29], v[68:69]
	v_fma_f64 v[68:69], v[28:29], v[70:71], -v[30:31]
	s_waitcnt lgkmcnt(2)
	v_mul_f64 v[30:31], v[26:27], v[74:75]
	v_fmac_f64_e32 v[30:31], v[24:25], v[72:73]
	v_mul_f64 v[26:27], v[26:27], v[72:73]
	s_waitcnt lgkmcnt(1)
	v_mul_f64 v[72:73], v[22:23], v[78:79]
	v_mul_f64 v[22:23], v[22:23], v[76:77]
	v_fma_f64 v[70:71], v[24:25], v[74:75], -v[26:27]
	v_fmac_f64_e32 v[72:73], v[20:21], v[76:77]
	v_fma_f64 v[74:75], v[20:21], v[78:79], -v[22:23]
	s_waitcnt lgkmcnt(0)
	v_mul_f64 v[22:23], v[18:19], v[82:83]
	v_mul_f64 v[18:19], v[18:19], v[80:81]
	v_fma_f64 v[76:77], v[16:17], v[82:83], -v[18:19]
	v_add_f64 v[18:19], v[30:31], v[72:73]
	s_mov_b32 s8, 0x134454ff
	v_fmac_f64_e32 v[22:23], v[16:17], v[80:81]
	v_fma_f64 v[24:25], -0.5, v[18:19], v[60:61]
	v_add_f64 v[18:19], v[68:69], -v[76:77]
	s_mov_b32 s9, 0xbfee6f0e
	s_mov_b32 s10, 0x4755a5e
	;; [unrolled: 1-line block ×4, first 2 shown]
	v_fma_f64 v[20:21], s[8:9], v[18:19], v[24:25]
	v_add_f64 v[26:27], v[70:71], -v[74:75]
	s_mov_b32 s11, 0xbfe2cf23
	v_add_f64 v[28:29], v[90:91], -v[30:31]
	v_add_f64 v[78:79], v[22:23], -v[72:73]
	s_mov_b32 s12, 0x372fe950
	v_fmac_f64_e32 v[24:25], s[14:15], v[18:19]
	s_mov_b32 s17, 0x3fe2cf23
	s_mov_b32 s16, s10
	v_fmac_f64_e32 v[20:21], s[10:11], v[26:27]
	v_add_f64 v[28:29], v[28:29], v[78:79]
	s_mov_b32 s13, 0x3fd3c6ef
	v_fmac_f64_e32 v[24:25], s[16:17], v[26:27]
	v_fmac_f64_e32 v[20:21], s[12:13], v[28:29]
	;; [unrolled: 1-line block ×3, first 2 shown]
	v_add_f64 v[28:29], v[90:91], v[22:23]
	v_add_f64 v[16:17], v[60:61], v[90:91]
	v_fmac_f64_e32 v[60:61], -0.5, v[28:29]
	v_fma_f64 v[28:29], s[14:15], v[26:27], v[60:61]
	v_add_f64 v[78:79], v[30:31], -v[90:91]
	v_add_f64 v[80:81], v[72:73], -v[22:23]
	v_fmac_f64_e32 v[60:61], s[8:9], v[26:27]
	v_add_f64 v[16:17], v[16:17], v[30:31]
	v_fmac_f64_e32 v[28:29], s[10:11], v[18:19]
	v_add_f64 v[78:79], v[78:79], v[80:81]
	;; [unrolled: 2-line block ×3, first 2 shown]
	v_add_f64 v[16:17], v[16:17], v[72:73]
	v_fmac_f64_e32 v[28:29], s[12:13], v[78:79]
	v_fmac_f64_e32 v[60:61], s[12:13], v[78:79]
	v_fma_f64 v[26:27], -0.5, v[26:27], v[62:63]
	v_add_f64 v[78:79], v[90:91], -v[22:23]
	v_add_f64 v[16:17], v[16:17], v[22:23]
	v_fma_f64 v[22:23], s[14:15], v[78:79], v[26:27]
	v_add_f64 v[72:73], v[30:31], -v[72:73]
	v_add_f64 v[30:31], v[68:69], -v[70:71]
	;; [unrolled: 1-line block ×3, first 2 shown]
	v_fmac_f64_e32 v[26:27], s[8:9], v[78:79]
	v_fmac_f64_e32 v[22:23], s[16:17], v[72:73]
	v_add_f64 v[30:31], v[30:31], v[80:81]
	v_fmac_f64_e32 v[26:27], s[10:11], v[72:73]
	v_fmac_f64_e32 v[22:23], s[12:13], v[30:31]
	;; [unrolled: 1-line block ×3, first 2 shown]
	v_add_f64 v[30:31], v[68:69], v[76:77]
	v_add_f64 v[18:19], v[62:63], v[68:69]
	v_fmac_f64_e32 v[62:63], -0.5, v[30:31]
	v_add_f64 v[18:19], v[18:19], v[70:71]
	v_fma_f64 v[30:31], s[8:9], v[72:73], v[62:63]
	v_add_f64 v[68:69], v[70:71], -v[68:69]
	v_add_f64 v[70:71], v[74:75], -v[76:77]
	v_fmac_f64_e32 v[62:63], s[14:15], v[72:73]
	v_add_f64 v[18:19], v[18:19], v[74:75]
	v_fmac_f64_e32 v[30:31], s[16:17], v[78:79]
	v_add_f64 v[68:69], v[68:69], v[70:71]
	;; [unrolled: 2-line block ×3, first 2 shown]
	v_fmac_f64_e32 v[30:31], s[12:13], v[68:69]
	v_fmac_f64_e32 v[62:63], s[12:13], v[68:69]
	s_barrier
	ds_write_b128 v105, v[16:19]
	ds_write_b128 v105, v[20:23] offset:32
	ds_write_b128 v105, v[28:31] offset:64
	;; [unrolled: 1-line block ×4, first 2 shown]
	s_waitcnt lgkmcnt(0)
	s_barrier
	s_and_saveexec_b64 s[8:9], s[0:1]
	s_cbranch_execz .LBB0_19
; %bb.18:
	ds_read_b128 v[16:19], v89
	ds_read_b128 v[20:23], v89 offset:160
	ds_read_b128 v[28:31], v89 offset:320
	;; [unrolled: 1-line block ×6, first 2 shown]
.LBB0_19:
	s_or_b64 exec, exec, s[8:9]
	s_and_saveexec_b64 s[8:9], s[0:1]
	s_cbranch_execz .LBB0_21
; %bb.20:
	s_waitcnt lgkmcnt(5)
	v_mul_f64 v[68:69], v[46:47], v[22:23]
	v_fmac_f64_e32 v[68:69], v[44:45], v[20:21]
	v_mul_f64 v[20:21], v[46:47], v[20:21]
	v_fma_f64 v[20:21], v[44:45], v[22:23], -v[20:21]
	s_waitcnt lgkmcnt(1)
	v_mul_f64 v[22:23], v[50:51], v[64:65]
	s_waitcnt lgkmcnt(0)
	v_mul_f64 v[70:71], v[54:55], v[58:59]
	v_mul_f64 v[74:75], v[34:35], v[26:27]
	;; [unrolled: 1-line block ×4, first 2 shown]
	v_fma_f64 v[46:47], v[48:49], v[66:67], -v[22:23]
	v_mul_f64 v[22:23], v[42:43], v[28:29]
	v_fmac_f64_e32 v[70:71], v[52:53], v[56:57]
	v_fmac_f64_e32 v[74:75], v[32:33], v[24:25]
	v_mul_f64 v[76:77], v[38:39], v[62:63]
	v_fmac_f64_e32 v[82:83], v[40:41], v[28:29]
	v_fma_f64 v[52:53], v[52:53], v[58:59], -v[54:55]
	v_fma_f64 v[28:29], v[40:41], v[30:31], -v[22:23]
	v_mul_f64 v[38:39], v[38:39], v[60:61]
	v_mul_f64 v[24:25], v[34:35], v[24:25]
	v_fmac_f64_e32 v[76:77], v[36:37], v[60:61]
	v_add_f64 v[44:45], v[20:21], v[52:53]
	v_add_f64 v[30:31], v[28:29], v[46:47]
	v_fma_f64 v[36:37], v[36:37], v[62:63], -v[38:39]
	v_fma_f64 v[24:25], v[32:33], v[26:27], -v[24:25]
	v_add_f64 v[22:23], v[30:31], v[44:45]
	v_add_f64 v[26:27], v[36:37], v[24:25]
	;; [unrolled: 1-line block ×3, first 2 shown]
	v_mul_f64 v[90:91], v[50:51], v[66:67]
	v_add_f64 v[18:19], v[18:19], v[22:23]
	s_mov_b32 s14, 0xaaaaaaaa
	v_fmac_f64_e32 v[90:91], v[48:49], v[64:65]
	s_mov_b32 s15, 0xbff2aaaa
	v_mov_b64_e32 v[32:33], v[18:19]
	s_mov_b32 s16, 0x37e14327
	v_fmac_f64_e32 v[32:33], s[14:15], v[22:23]
	v_add_f64 v[22:23], v[44:45], -v[26:27]
	s_mov_b32 s17, 0x3fe948f6
	v_add_f64 v[42:43], v[68:69], v[70:71]
	v_add_f64 v[48:49], v[82:83], v[90:91]
	v_mul_f64 v[34:35], v[22:23], s[16:17]
	v_add_f64 v[22:23], v[26:27], -v[30:31]
	v_add_f64 v[26:27], v[48:49], v[42:43]
	v_add_f64 v[50:51], v[76:77], v[74:75]
	;; [unrolled: 1-line block ×4, first 2 shown]
	v_mov_b64_e32 v[54:55], v[16:17]
	s_mov_b32 s18, 0x36b3c0b5
	v_fmac_f64_e32 v[54:55], s[14:15], v[26:27]
	v_add_f64 v[26:27], v[42:43], -v[50:51]
	s_mov_b32 s19, 0x3fac98ee
	v_mul_f64 v[56:57], v[26:27], s[16:17]
	v_add_f64 v[26:27], v[50:51], -v[48:49]
	v_add_f64 v[78:79], v[74:75], -v[76:77]
	;; [unrolled: 1-line block ×3, first 2 shown]
	s_mov_b32 s12, 0xe976ee23
	v_mul_f64 v[50:51], v[26:27], s[18:19]
	v_fma_f64 v[26:27], s[18:19], v[26:27], v[56:57]
	v_add_f64 v[52:53], v[20:21], -v[52:53]
	v_add_f64 v[20:21], v[24:25], -v[36:37]
	;; [unrolled: 1-line block ×4, first 2 shown]
	s_mov_b32 s13, 0x3fe11646
	v_add_f64 v[58:59], v[26:27], v[54:55]
	v_add_f64 v[26:27], v[20:21], -v[28:29]
	v_add_f64 v[72:73], v[68:69], -v[70:71]
	v_mul_f64 v[94:95], v[94:95], s[12:13]
	v_mul_f64 v[36:37], v[26:27], s[12:13]
	s_mov_b32 s12, 0x429ad128
	v_add_f64 v[80:81], v[72:73], -v[78:79]
	s_mov_b32 s11, 0xbfd5d0dc
	s_mov_b32 s10, 0xb247c609
	v_add_f64 v[24:25], v[52:53], -v[20:21]
	v_add_f64 v[62:63], v[92:93], -v[72:73]
	s_mov_b32 s13, 0xbfebfeb5
	v_fma_f64 v[96:97], s[10:11], v[80:81], v[94:95]
	v_fma_f64 v[46:47], s[10:11], v[24:25], v[36:37]
	v_mul_f64 v[26:27], v[62:63], s[12:13]
	s_mov_b32 s11, 0x3fd5d0dc
	v_add_f64 v[30:31], v[30:31], -v[44:45]
	s_mov_b32 s15, 0xbfe77f67
	s_mov_b32 s14, 0x5476071b
	v_mul_f64 v[38:39], v[22:23], s[18:19]
	v_fma_f64 v[22:23], s[18:19], v[22:23], v[34:35]
	v_add_f64 v[20:21], v[20:21], v[28:29]
	v_fma_f64 v[64:65], v[80:81], s[10:11], -v[26:27]
	v_fma_f64 v[26:27], v[30:31], s[14:15], -v[34:35]
	v_add_f64 v[34:35], v[48:49], -v[42:43]
	v_add_f64 v[28:29], v[28:29], -v[52:53]
	v_add_f64 v[78:79], v[78:79], v[92:93]
	s_mov_b32 s0, 0x37c3f68c
	v_fma_f64 v[42:43], v[34:35], s[14:15], -v[56:57]
	v_mul_f64 v[48:49], v[28:29], s[12:13]
	s_mov_b32 s15, 0x3fe77f67
	v_add_f64 v[78:79], v[78:79], v[72:73]
	s_mov_b32 s1, 0xbfdc38aa
	v_add_f64 v[60:61], v[20:21], v[52:53]
	v_fma_f64 v[48:49], v[24:25], s[10:11], -v[48:49]
	v_fma_f64 v[30:31], v[30:31], s[14:15], -v[38:39]
	;; [unrolled: 1-line block ×5, first 2 shown]
	v_fmac_f64_e32 v[96:97], s[0:1], v[78:79]
	v_add_f64 v[40:41], v[22:23], v[32:33]
	v_fmac_f64_e32 v[46:47], s[0:1], v[60:61]
	v_add_f64 v[44:45], v[26:27], v[32:33]
	v_add_f64 v[42:43], v[42:43], v[54:55]
	v_fmac_f64_e32 v[48:49], s[0:1], v[60:61]
	v_add_f64 v[32:33], v[30:31], v[32:33]
	v_fmac_f64_e32 v[38:39], s[0:1], v[78:79]
	;; [unrolled: 2-line block ×4, first 2 shown]
	v_add_f64 v[24:25], v[42:43], -v[48:49]
	v_add_f64 v[30:31], v[32:33], -v[38:39]
	v_add_f64 v[28:29], v[36:37], v[50:51]
	v_add_f64 v[34:35], v[38:39], v[32:33]
	v_add_f64 v[32:33], v[50:51], -v[36:37]
	v_add_f64 v[36:37], v[48:49], v[42:43]
	v_add_f64 v[42:43], v[40:41], -v[96:97]
	v_add_f64 v[40:41], v[46:47], v[58:59]
	ds_write_b128 v89, v[16:19]
	v_lshl_add_u32 v16, v84, 4, v102
	v_add_f64 v[20:21], v[58:59], -v[46:47]
	v_add_f64 v[26:27], v[64:65], v[44:45]
	v_add_f64 v[38:39], v[44:45], -v[64:65]
	ds_write_b128 v16, v[40:43] offset:160
	ds_write_b128 v16, v[36:39] offset:320
	;; [unrolled: 1-line block ×6, first 2 shown]
.LBB0_21:
	s_or_b64 exec, exec, s[8:9]
	s_waitcnt lgkmcnt(0)
	s_barrier
	ds_read_b128 v[16:19], v89
	v_mad_u64_u32 v[30:31], s[0:1], s6, v88, 0
	v_mov_b32_e32 v20, v31
	v_mad_u64_u32 v[20:21], s[0:1], s7, v88, v[20:21]
	v_mov_b32_e32 v31, v20
	ds_read_b128 v[20:23], v89 offset:224
	s_waitcnt lgkmcnt(1)
	v_mul_f64 v[24:25], v[14:15], v[18:19]
	s_mov_b32 s0, 0x1d41d41d
	v_mul_f64 v[14:15], v[14:15], v[16:17]
	v_mov_b32_e32 v28, s2
	v_mov_b32_e32 v29, s3
	v_fmac_f64_e32 v[24:25], v[12:13], v[16:17]
	s_mov_b32 s1, 0x3f8d41d4
	v_fma_f64 v[12:13], v[12:13], v[18:19], -v[14:15]
	v_mad_u64_u32 v[16:17], s[2:3], s4, v84, 0
	v_mul_f64 v[26:27], v[12:13], s[0:1]
	v_mov_b32_e32 v12, v17
	v_mad_u64_u32 v[12:13], s[2:3], s5, v84, v[12:13]
	v_mov_b32_e32 v17, v12
	ds_read_b128 v[12:15], v89 offset:560
	v_lshl_add_u64 v[18:19], v[30:31], 4, v[28:29]
	v_mul_f64 v[24:25], v[24:25], s[0:1]
	v_lshl_add_u64 v[28:29], v[16:17], 4, v[18:19]
	ds_read_b128 v[16:19], v89 offset:784
	global_store_dwordx4 v[28:29], v[24:27], off
	s_mul_i32 s2, s5, 35
	s_mul_hi_u32 s3, s4, 35
	s_waitcnt lgkmcnt(1)
	v_mul_f64 v[24:25], v[2:3], v[14:15]
	v_mul_f64 v[2:3], v[2:3], v[12:13]
	v_fmac_f64_e32 v[24:25], v[0:1], v[12:13]
	v_fma_f64 v[0:1], v[0:1], v[14:15], -v[2:3]
	s_add_i32 s3, s3, s2
	s_mul_i32 s2, s4, 35
	s_mul_hi_u32 s8, s4, 0xffffffeb
	v_mul_f64 v[26:27], v[0:1], s[0:1]
	s_lshl_b64 s[6:7], s[2:3], 4
	v_mul_f64 v[0:1], v[6:7], v[22:23]
	v_mul_f64 v[2:3], v[6:7], v[20:21]
	s_mulk_i32 s5, 0xffeb
	s_sub_i32 s8, s8, s4
	v_lshl_add_u64 v[12:13], v[28:29], 0, s[6:7]
	v_fmac_f64_e32 v[0:1], v[4:5], v[20:21]
	v_fma_f64 v[2:3], v[4:5], v[22:23], -v[2:3]
	s_add_i32 s5, s8, s5
	s_mulk_i32 s4, 0xffeb
	v_mul_f64 v[24:25], v[24:25], s[0:1]
	v_mul_f64 v[0:1], v[0:1], s[0:1]
	v_mul_f64 v[2:3], v[2:3], s[0:1]
	v_lshl_add_u64 v[6:7], s[4:5], 4, v[12:13]
	global_store_dwordx4 v[12:13], v[24:27], off
	global_store_dwordx4 v[6:7], v[0:3], off
	s_waitcnt lgkmcnt(0)
	s_nop 0
	v_mul_f64 v[0:1], v[10:11], v[18:19]
	v_fmac_f64_e32 v[0:1], v[8:9], v[16:17]
	v_mul_f64 v[2:3], v[0:1], s[0:1]
	v_mul_f64 v[0:1], v[10:11], v[16:17]
	v_fma_f64 v[0:1], v[8:9], v[18:19], -v[0:1]
	v_mul_f64 v[4:5], v[0:1], s[0:1]
	v_lshl_add_u64 v[0:1], v[6:7], 0, s[6:7]
	global_store_dwordx4 v[0:1], v[2:5], off
	s_and_b64 exec, exec, vcc
	s_cbranch_execz .LBB0_23
; %bb.22:
	global_load_dwordx4 v[2:5], v[86:87], off offset:448
	global_load_dwordx4 v[6:9], v[86:87], off offset:1008
	ds_read_b128 v[10:13], v89 offset:448
	ds_read_b128 v[14:17], v89 offset:1008
	v_lshl_add_u64 v[18:19], s[4:5], 4, v[0:1]
	v_lshl_add_u64 v[20:21], s[2:3], 4, v[18:19]
	s_waitcnt vmcnt(1) lgkmcnt(1)
	v_mul_f64 v[0:1], v[12:13], v[4:5]
	v_mul_f64 v[4:5], v[10:11], v[4:5]
	s_waitcnt vmcnt(0) lgkmcnt(0)
	v_mul_f64 v[22:23], v[16:17], v[8:9]
	v_mul_f64 v[8:9], v[14:15], v[8:9]
	v_fmac_f64_e32 v[0:1], v[10:11], v[2:3]
	v_fma_f64 v[2:3], v[2:3], v[12:13], -v[4:5]
	v_fmac_f64_e32 v[22:23], v[14:15], v[6:7]
	v_fma_f64 v[6:7], v[6:7], v[16:17], -v[8:9]
	v_mul_f64 v[0:1], v[0:1], s[0:1]
	v_mul_f64 v[2:3], v[2:3], s[0:1]
	;; [unrolled: 1-line block ×4, first 2 shown]
	global_store_dwordx4 v[18:19], v[0:3], off
	global_store_dwordx4 v[20:21], v[4:7], off
.LBB0_23:
	s_endpgm
	.section	.rodata,"a",@progbits
	.p2align	6, 0x0
	.amdhsa_kernel bluestein_single_fwd_len70_dim1_dp_op_CI_CI
		.amdhsa_group_segment_fixed_size 20160
		.amdhsa_private_segment_fixed_size 0
		.amdhsa_kernarg_size 104
		.amdhsa_user_sgpr_count 2
		.amdhsa_user_sgpr_dispatch_ptr 0
		.amdhsa_user_sgpr_queue_ptr 0
		.amdhsa_user_sgpr_kernarg_segment_ptr 1
		.amdhsa_user_sgpr_dispatch_id 0
		.amdhsa_user_sgpr_kernarg_preload_length 0
		.amdhsa_user_sgpr_kernarg_preload_offset 0
		.amdhsa_user_sgpr_private_segment_size 0
		.amdhsa_uses_dynamic_stack 0
		.amdhsa_enable_private_segment 0
		.amdhsa_system_sgpr_workgroup_id_x 1
		.amdhsa_system_sgpr_workgroup_id_y 0
		.amdhsa_system_sgpr_workgroup_id_z 0
		.amdhsa_system_sgpr_workgroup_info 0
		.amdhsa_system_vgpr_workitem_id 0
		.amdhsa_next_free_vgpr 122
		.amdhsa_next_free_sgpr 22
		.amdhsa_accum_offset 124
		.amdhsa_reserve_vcc 1
		.amdhsa_float_round_mode_32 0
		.amdhsa_float_round_mode_16_64 0
		.amdhsa_float_denorm_mode_32 3
		.amdhsa_float_denorm_mode_16_64 3
		.amdhsa_dx10_clamp 1
		.amdhsa_ieee_mode 1
		.amdhsa_fp16_overflow 0
		.amdhsa_tg_split 0
		.amdhsa_exception_fp_ieee_invalid_op 0
		.amdhsa_exception_fp_denorm_src 0
		.amdhsa_exception_fp_ieee_div_zero 0
		.amdhsa_exception_fp_ieee_overflow 0
		.amdhsa_exception_fp_ieee_underflow 0
		.amdhsa_exception_fp_ieee_inexact 0
		.amdhsa_exception_int_div_zero 0
	.end_amdhsa_kernel
	.text
.Lfunc_end0:
	.size	bluestein_single_fwd_len70_dim1_dp_op_CI_CI, .Lfunc_end0-bluestein_single_fwd_len70_dim1_dp_op_CI_CI
                                        ; -- End function
	.section	.AMDGPU.csdata,"",@progbits
; Kernel info:
; codeLenInByte = 5840
; NumSgprs: 28
; NumVgprs: 122
; NumAgprs: 0
; TotalNumVgprs: 122
; ScratchSize: 0
; MemoryBound: 0
; FloatMode: 240
; IeeeMode: 1
; LDSByteSize: 20160 bytes/workgroup (compile time only)
; SGPRBlocks: 3
; VGPRBlocks: 15
; NumSGPRsForWavesPerEU: 28
; NumVGPRsForWavesPerEU: 122
; AccumOffset: 124
; Occupancy: 4
; WaveLimiterHint : 1
; COMPUTE_PGM_RSRC2:SCRATCH_EN: 0
; COMPUTE_PGM_RSRC2:USER_SGPR: 2
; COMPUTE_PGM_RSRC2:TRAP_HANDLER: 0
; COMPUTE_PGM_RSRC2:TGID_X_EN: 1
; COMPUTE_PGM_RSRC2:TGID_Y_EN: 0
; COMPUTE_PGM_RSRC2:TGID_Z_EN: 0
; COMPUTE_PGM_RSRC2:TIDIG_COMP_CNT: 0
; COMPUTE_PGM_RSRC3_GFX90A:ACCUM_OFFSET: 30
; COMPUTE_PGM_RSRC3_GFX90A:TG_SPLIT: 0
	.text
	.p2alignl 6, 3212836864
	.fill 256, 4, 3212836864
	.type	__hip_cuid_2f43c3bf745a0e41,@object ; @__hip_cuid_2f43c3bf745a0e41
	.section	.bss,"aw",@nobits
	.globl	__hip_cuid_2f43c3bf745a0e41
__hip_cuid_2f43c3bf745a0e41:
	.byte	0                               ; 0x0
	.size	__hip_cuid_2f43c3bf745a0e41, 1

	.ident	"AMD clang version 19.0.0git (https://github.com/RadeonOpenCompute/llvm-project roc-6.4.0 25133 c7fe45cf4b819c5991fe208aaa96edf142730f1d)"
	.section	".note.GNU-stack","",@progbits
	.addrsig
	.addrsig_sym __hip_cuid_2f43c3bf745a0e41
	.amdgpu_metadata
---
amdhsa.kernels:
  - .agpr_count:     0
    .args:
      - .actual_access:  read_only
        .address_space:  global
        .offset:         0
        .size:           8
        .value_kind:     global_buffer
      - .actual_access:  read_only
        .address_space:  global
        .offset:         8
        .size:           8
        .value_kind:     global_buffer
      - .actual_access:  read_only
        .address_space:  global
        .offset:         16
        .size:           8
        .value_kind:     global_buffer
      - .actual_access:  read_only
        .address_space:  global
        .offset:         24
        .size:           8
        .value_kind:     global_buffer
      - .actual_access:  read_only
        .address_space:  global
        .offset:         32
        .size:           8
        .value_kind:     global_buffer
      - .offset:         40
        .size:           8
        .value_kind:     by_value
      - .address_space:  global
        .offset:         48
        .size:           8
        .value_kind:     global_buffer
      - .address_space:  global
        .offset:         56
        .size:           8
        .value_kind:     global_buffer
      - .address_space:  global
        .offset:         64
        .size:           8
        .value_kind:     global_buffer
      - .address_space:  global
        .offset:         72
        .size:           8
        .value_kind:     global_buffer
      - .offset:         80
        .size:           4
        .value_kind:     by_value
      - .address_space:  global
        .offset:         88
        .size:           8
        .value_kind:     global_buffer
      - .address_space:  global
        .offset:         96
        .size:           8
        .value_kind:     global_buffer
    .group_segment_fixed_size: 20160
    .kernarg_segment_align: 8
    .kernarg_segment_size: 104
    .language:       OpenCL C
    .language_version:
      - 2
      - 0
    .max_flat_workgroup_size: 252
    .name:           bluestein_single_fwd_len70_dim1_dp_op_CI_CI
    .private_segment_fixed_size: 0
    .sgpr_count:     28
    .sgpr_spill_count: 0
    .symbol:         bluestein_single_fwd_len70_dim1_dp_op_CI_CI.kd
    .uniform_work_group_size: 1
    .uses_dynamic_stack: false
    .vgpr_count:     122
    .vgpr_spill_count: 0
    .wavefront_size: 64
amdhsa.target:   amdgcn-amd-amdhsa--gfx950
amdhsa.version:
  - 1
  - 2
...

	.end_amdgpu_metadata
